;; amdgpu-corpus repo=ROCm/rocFFT kind=compiled arch=gfx1030 opt=O3
	.text
	.amdgcn_target "amdgcn-amd-amdhsa--gfx1030"
	.amdhsa_code_object_version 6
	.protected	fft_rtc_fwd_len336_factors_8_7_6_wgs_112_tpt_56_halfLds_half_op_CI_CI_sbrr_dirReg ; -- Begin function fft_rtc_fwd_len336_factors_8_7_6_wgs_112_tpt_56_halfLds_half_op_CI_CI_sbrr_dirReg
	.globl	fft_rtc_fwd_len336_factors_8_7_6_wgs_112_tpt_56_halfLds_half_op_CI_CI_sbrr_dirReg
	.p2align	8
	.type	fft_rtc_fwd_len336_factors_8_7_6_wgs_112_tpt_56_halfLds_half_op_CI_CI_sbrr_dirReg,@function
fft_rtc_fwd_len336_factors_8_7_6_wgs_112_tpt_56_halfLds_half_op_CI_CI_sbrr_dirReg: ; @fft_rtc_fwd_len336_factors_8_7_6_wgs_112_tpt_56_halfLds_half_op_CI_CI_sbrr_dirReg
; %bb.0:
	s_clause 0x2
	s_load_dwordx4 s[16:19], s[4:5], 0x18
	s_load_dwordx4 s[12:15], s[4:5], 0x0
	;; [unrolled: 1-line block ×3, first 2 shown]
	v_mul_u32_u24_e32 v1, 0x493, v0
	v_mov_b32_e32 v7, 0
	v_mov_b32_e32 v5, 0
	;; [unrolled: 1-line block ×3, first 2 shown]
	s_waitcnt lgkmcnt(0)
	s_load_dwordx2 s[20:21], s[16:17], 0x0
	s_load_dwordx2 s[2:3], s[18:19], 0x0
	v_lshrrev_b32_e32 v11, 16, v1
	v_cmp_lt_u64_e64 s0, s[14:15], 2
	v_mov_b32_e32 v10, v7
	v_lshl_add_u32 v9, s6, 1, v11
	s_and_b32 vcc_lo, exec_lo, s0
	s_cbranch_vccnz .LBB0_8
; %bb.1:
	s_load_dwordx2 s[0:1], s[4:5], 0x10
	v_mov_b32_e32 v5, 0
	v_mov_b32_e32 v6, 0
	s_add_u32 s6, s18, 8
	s_addc_u32 s7, s19, 0
	v_mov_b32_e32 v1, v5
	s_add_u32 s22, s16, 8
	v_mov_b32_e32 v2, v6
	s_addc_u32 s23, s17, 0
	s_mov_b64 s[26:27], 1
	s_waitcnt lgkmcnt(0)
	s_add_u32 s24, s0, 8
	s_addc_u32 s25, s1, 0
.LBB0_2:                                ; =>This Inner Loop Header: Depth=1
	s_load_dwordx2 s[28:29], s[24:25], 0x0
                                        ; implicit-def: $vgpr3_vgpr4
	s_mov_b32 s0, exec_lo
	s_waitcnt lgkmcnt(0)
	v_or_b32_e32 v8, s29, v10
	v_cmpx_ne_u64_e32 0, v[7:8]
	s_xor_b32 s1, exec_lo, s0
	s_cbranch_execz .LBB0_4
; %bb.3:                                ;   in Loop: Header=BB0_2 Depth=1
	v_cvt_f32_u32_e32 v3, s28
	v_cvt_f32_u32_e32 v4, s29
	s_sub_u32 s0, 0, s28
	s_subb_u32 s30, 0, s29
	v_fmac_f32_e32 v3, 0x4f800000, v4
	v_rcp_f32_e32 v3, v3
	v_mul_f32_e32 v3, 0x5f7ffffc, v3
	v_mul_f32_e32 v4, 0x2f800000, v3
	v_trunc_f32_e32 v4, v4
	v_fmac_f32_e32 v3, 0xcf800000, v4
	v_cvt_u32_f32_e32 v4, v4
	v_cvt_u32_f32_e32 v3, v3
	v_mul_lo_u32 v8, s0, v4
	v_mul_hi_u32 v12, s0, v3
	v_mul_lo_u32 v13, s30, v3
	v_add_nc_u32_e32 v8, v12, v8
	v_mul_lo_u32 v12, s0, v3
	v_add_nc_u32_e32 v8, v8, v13
	v_mul_hi_u32 v13, v3, v12
	v_mul_lo_u32 v14, v3, v8
	v_mul_hi_u32 v15, v3, v8
	v_mul_hi_u32 v16, v4, v12
	v_mul_lo_u32 v12, v4, v12
	v_mul_hi_u32 v17, v4, v8
	v_mul_lo_u32 v8, v4, v8
	v_add_co_u32 v13, vcc_lo, v13, v14
	v_add_co_ci_u32_e32 v14, vcc_lo, 0, v15, vcc_lo
	v_add_co_u32 v12, vcc_lo, v13, v12
	v_add_co_ci_u32_e32 v12, vcc_lo, v14, v16, vcc_lo
	v_add_co_ci_u32_e32 v13, vcc_lo, 0, v17, vcc_lo
	v_add_co_u32 v8, vcc_lo, v12, v8
	v_add_co_ci_u32_e32 v12, vcc_lo, 0, v13, vcc_lo
	v_add_co_u32 v3, vcc_lo, v3, v8
	v_add_co_ci_u32_e32 v4, vcc_lo, v4, v12, vcc_lo
	v_mul_hi_u32 v8, s0, v3
	v_mul_lo_u32 v13, s30, v3
	v_mul_lo_u32 v12, s0, v4
	v_add_nc_u32_e32 v8, v8, v12
	v_mul_lo_u32 v12, s0, v3
	v_add_nc_u32_e32 v8, v8, v13
	v_mul_hi_u32 v13, v3, v12
	v_mul_lo_u32 v14, v3, v8
	v_mul_hi_u32 v15, v3, v8
	v_mul_hi_u32 v16, v4, v12
	v_mul_lo_u32 v12, v4, v12
	v_mul_hi_u32 v17, v4, v8
	v_mul_lo_u32 v8, v4, v8
	v_add_co_u32 v13, vcc_lo, v13, v14
	v_add_co_ci_u32_e32 v14, vcc_lo, 0, v15, vcc_lo
	v_add_co_u32 v12, vcc_lo, v13, v12
	v_add_co_ci_u32_e32 v12, vcc_lo, v14, v16, vcc_lo
	v_add_co_ci_u32_e32 v13, vcc_lo, 0, v17, vcc_lo
	v_add_co_u32 v8, vcc_lo, v12, v8
	v_add_co_ci_u32_e32 v12, vcc_lo, 0, v13, vcc_lo
	v_add_co_u32 v8, vcc_lo, v3, v8
	v_add_co_ci_u32_e32 v14, vcc_lo, v4, v12, vcc_lo
	v_mul_hi_u32 v16, v9, v8
	v_mad_u64_u32 v[12:13], null, v10, v8, 0
	v_mad_u64_u32 v[3:4], null, v9, v14, 0
	;; [unrolled: 1-line block ×3, first 2 shown]
	v_add_co_u32 v3, vcc_lo, v16, v3
	v_add_co_ci_u32_e32 v4, vcc_lo, 0, v4, vcc_lo
	v_add_co_u32 v3, vcc_lo, v3, v12
	v_add_co_ci_u32_e32 v3, vcc_lo, v4, v13, vcc_lo
	v_add_co_ci_u32_e32 v4, vcc_lo, 0, v15, vcc_lo
	v_add_co_u32 v8, vcc_lo, v3, v14
	v_add_co_ci_u32_e32 v12, vcc_lo, 0, v4, vcc_lo
	v_mul_lo_u32 v13, s29, v8
	v_mad_u64_u32 v[3:4], null, s28, v8, 0
	v_mul_lo_u32 v14, s28, v12
	v_sub_co_u32 v3, vcc_lo, v9, v3
	v_add3_u32 v4, v4, v14, v13
	v_sub_nc_u32_e32 v13, v10, v4
	v_subrev_co_ci_u32_e64 v13, s0, s29, v13, vcc_lo
	v_add_co_u32 v14, s0, v8, 2
	v_add_co_ci_u32_e64 v15, s0, 0, v12, s0
	v_sub_co_u32 v16, s0, v3, s28
	v_sub_co_ci_u32_e32 v4, vcc_lo, v10, v4, vcc_lo
	v_subrev_co_ci_u32_e64 v13, s0, 0, v13, s0
	v_cmp_le_u32_e32 vcc_lo, s28, v16
	v_cmp_eq_u32_e64 s0, s29, v4
	v_cndmask_b32_e64 v16, 0, -1, vcc_lo
	v_cmp_le_u32_e32 vcc_lo, s29, v13
	v_cndmask_b32_e64 v17, 0, -1, vcc_lo
	v_cmp_le_u32_e32 vcc_lo, s28, v3
	v_cndmask_b32_e64 v3, 0, -1, vcc_lo
	v_cmp_le_u32_e32 vcc_lo, s29, v4
	v_cndmask_b32_e64 v18, 0, -1, vcc_lo
	v_cmp_eq_u32_e32 vcc_lo, s29, v13
	v_cndmask_b32_e64 v3, v18, v3, s0
	v_cndmask_b32_e32 v13, v17, v16, vcc_lo
	v_add_co_u32 v16, vcc_lo, v8, 1
	v_add_co_ci_u32_e32 v17, vcc_lo, 0, v12, vcc_lo
	v_cmp_ne_u32_e32 vcc_lo, 0, v13
	v_cndmask_b32_e32 v4, v17, v15, vcc_lo
	v_cndmask_b32_e32 v13, v16, v14, vcc_lo
	v_cmp_ne_u32_e32 vcc_lo, 0, v3
	v_cndmask_b32_e32 v4, v12, v4, vcc_lo
	v_cndmask_b32_e32 v3, v8, v13, vcc_lo
.LBB0_4:                                ;   in Loop: Header=BB0_2 Depth=1
	s_andn2_saveexec_b32 s0, s1
	s_cbranch_execz .LBB0_6
; %bb.5:                                ;   in Loop: Header=BB0_2 Depth=1
	v_cvt_f32_u32_e32 v3, s28
	s_sub_i32 s1, 0, s28
	v_rcp_iflag_f32_e32 v3, v3
	v_mul_f32_e32 v3, 0x4f7ffffe, v3
	v_cvt_u32_f32_e32 v3, v3
	v_mul_lo_u32 v4, s1, v3
	v_mul_hi_u32 v4, v3, v4
	v_add_nc_u32_e32 v3, v3, v4
	v_mul_hi_u32 v3, v9, v3
	v_mul_lo_u32 v4, v3, s28
	v_add_nc_u32_e32 v8, 1, v3
	v_sub_nc_u32_e32 v4, v9, v4
	v_subrev_nc_u32_e32 v12, s28, v4
	v_cmp_le_u32_e32 vcc_lo, s28, v4
	v_cndmask_b32_e32 v4, v4, v12, vcc_lo
	v_cndmask_b32_e32 v3, v3, v8, vcc_lo
	v_cmp_le_u32_e32 vcc_lo, s28, v4
	v_add_nc_u32_e32 v8, 1, v3
	v_mov_b32_e32 v4, v7
	v_cndmask_b32_e32 v3, v3, v8, vcc_lo
.LBB0_6:                                ;   in Loop: Header=BB0_2 Depth=1
	s_or_b32 exec_lo, exec_lo, s0
	v_mul_lo_u32 v8, v4, s28
	v_mul_lo_u32 v14, v3, s29
	s_load_dwordx2 s[0:1], s[22:23], 0x0
	v_mad_u64_u32 v[12:13], null, v3, s28, 0
	s_load_dwordx2 s[28:29], s[6:7], 0x0
	s_add_u32 s26, s26, 1
	s_addc_u32 s27, s27, 0
	s_add_u32 s6, s6, 8
	s_addc_u32 s7, s7, 0
	s_add_u32 s22, s22, 8
	v_add3_u32 v8, v13, v14, v8
	v_sub_co_u32 v9, vcc_lo, v9, v12
	s_addc_u32 s23, s23, 0
	s_add_u32 s24, s24, 8
	v_sub_co_ci_u32_e32 v8, vcc_lo, v10, v8, vcc_lo
	s_addc_u32 s25, s25, 0
	s_waitcnt lgkmcnt(0)
	v_mul_lo_u32 v10, s0, v8
	v_mul_lo_u32 v12, s1, v9
	v_mad_u64_u32 v[5:6], null, s0, v9, v[5:6]
	v_mul_lo_u32 v8, s28, v8
	v_mul_lo_u32 v13, s29, v9
	v_mad_u64_u32 v[1:2], null, s28, v9, v[1:2]
	v_cmp_ge_u64_e64 s0, s[26:27], s[14:15]
	v_add3_u32 v6, v12, v6, v10
	v_add3_u32 v2, v13, v2, v8
	s_and_b32 vcc_lo, exec_lo, s0
	s_cbranch_vccnz .LBB0_9
; %bb.7:                                ;   in Loop: Header=BB0_2 Depth=1
	v_mov_b32_e32 v10, v4
	v_mov_b32_e32 v9, v3
	s_branch .LBB0_2
.LBB0_8:
	v_mov_b32_e32 v1, v5
	v_mov_b32_e32 v3, v9
	;; [unrolled: 1-line block ×4, first 2 shown]
.LBB0_9:
	s_load_dwordx2 s[0:1], s[4:5], 0x28
	s_lshl_b64 s[6:7], s[14:15], 3
	v_mul_hi_u32 v8, 0x4924925, v0
	s_add_u32 s4, s18, s6
	s_addc_u32 s5, s19, s7
	v_mov_b32_e32 v9, 0
	s_load_dwordx2 s[4:5], s[4:5], 0x0
	v_mov_b32_e32 v7, 0
	v_mov_b32_e32 v16, 0
	;; [unrolled: 1-line block ×3, first 2 shown]
	v_mul_u32_u24_e32 v8, 56, v8
	v_mov_b32_e32 v14, 0
	v_mov_b32_e32 v10, 0
	;; [unrolled: 1-line block ×4, first 2 shown]
	v_sub_nc_u32_e32 v0, v0, v8
	v_mov_b32_e32 v8, 0
                                        ; implicit-def: $vgpr12
                                        ; implicit-def: $vgpr20
                                        ; implicit-def: $vgpr22
                                        ; implicit-def: $vgpr19
                                        ; implicit-def: $vgpr24
                                        ; implicit-def: $vgpr21
                                        ; implicit-def: $vgpr23
                                        ; implicit-def: $vgpr18
	s_waitcnt lgkmcnt(0)
	v_cmp_gt_u64_e32 vcc_lo, s[0:1], v[3:4]
	s_and_saveexec_b32 s1, vcc_lo
	s_cbranch_execz .LBB0_13
; %bb.10:
	v_mov_b32_e32 v8, 0
	v_mov_b32_e32 v13, 0
	v_mov_b32_e32 v17, 0
	v_mov_b32_e32 v10, 0
	v_mov_b32_e32 v14, 0
	v_mov_b32_e32 v15, 0
	v_mov_b32_e32 v16, 0
	v_mov_b32_e32 v9, 0
	s_mov_b32 s14, exec_lo
                                        ; implicit-def: $vgpr18
                                        ; implicit-def: $vgpr23
                                        ; implicit-def: $vgpr21
                                        ; implicit-def: $vgpr24
                                        ; implicit-def: $vgpr19
                                        ; implicit-def: $vgpr22
                                        ; implicit-def: $vgpr20
                                        ; implicit-def: $vgpr12
	v_cmpx_gt_u32_e32 42, v0
	s_cbranch_execz .LBB0_12
; %bb.11:
	s_add_u32 s6, s16, s6
	s_addc_u32 s7, s17, s7
	v_add_nc_u32_e32 v19, 42, v0
	s_load_dwordx2 s[6:7], s[6:7], 0x0
	v_mad_u64_u32 v[7:8], null, s20, v0, 0
	v_add_nc_u32_e32 v22, 0x54, v0
	v_mad_u64_u32 v[9:10], null, s20, v19, 0
	v_add_nc_u32_e32 v23, 0x7e, v0
	v_add_nc_u32_e32 v24, 0xa8, v0
	v_mad_u64_u32 v[12:13], null, s20, v22, 0
	v_lshlrev_b64 v[5:6], 2, v[5:6]
	v_add_nc_u32_e32 v25, 0xd2, v0
	v_mad_u64_u32 v[16:17], null, s21, v0, v[8:9]
	v_mov_b32_e32 v8, v10
	v_mad_u64_u32 v[17:18], null, s20, v23, 0
	v_mov_b32_e32 v10, v13
	v_add_nc_u32_e32 v28, 0x126, v0
	s_waitcnt lgkmcnt(0)
	v_mul_lo_u32 v20, s7, v3
	v_mul_lo_u32 v21, s6, v4
	v_mad_u64_u32 v[14:15], null, s6, v3, 0
	v_add3_u32 v15, v15, v21, v20
	v_mad_u64_u32 v[19:20], null, s21, v19, v[8:9]
	v_mov_b32_e32 v8, v16
	v_mad_u64_u32 v[20:21], null, s20, v24, 0
	v_lshlrev_b64 v[13:14], 2, v[14:15]
	v_mad_u64_u32 v[15:16], null, s21, v22, v[10:11]
	v_mov_b32_e32 v16, v18
	v_mov_b32_e32 v10, v19
	v_add_nc_u32_e32 v19, 0xfc, v0
	v_add_co_u32 v18, s0, s8, v13
	v_add_co_ci_u32_e64 v14, s0, s9, v14, s0
	v_mov_b32_e32 v13, v15
	v_add_co_u32 v26, s0, v18, v5
	v_add_co_ci_u32_e64 v27, s0, v14, v6, s0
	v_lshlrev_b64 v[5:6], 2, v[9:10]
	v_mad_u64_u32 v[9:10], null, s21, v23, v[16:17]
	v_mad_u64_u32 v[14:15], null, s20, v25, 0
	v_mov_b32_e32 v10, v21
	v_mad_u64_u32 v[22:23], null, s20, v19, 0
	v_lshlrev_b64 v[7:8], 2, v[7:8]
	v_mov_b32_e32 v18, v9
	v_mad_u64_u32 v[9:10], null, s21, v24, v[10:11]
	v_mov_b32_e32 v10, v15
	v_lshlrev_b64 v[12:13], 2, v[12:13]
	v_add_co_u32 v7, s0, v26, v7
	v_add_co_ci_u32_e64 v8, s0, v27, v8, s0
	v_mad_u64_u32 v[15:16], null, s21, v25, v[10:11]
	v_mad_u64_u32 v[24:25], null, s20, v28, 0
	v_mov_b32_e32 v10, v23
	v_add_co_u32 v5, s0, v26, v5
	v_lshlrev_b64 v[16:17], 2, v[17:18]
	v_add_co_ci_u32_e64 v6, s0, v27, v6, s0
	v_mov_b32_e32 v21, v9
	v_mad_u64_u32 v[9:10], null, s21, v19, v[10:11]
	v_add_co_u32 v12, s0, v26, v12
	v_mov_b32_e32 v10, v25
	v_add_co_ci_u32_e64 v13, s0, v27, v13, s0
	v_add_co_u32 v18, s0, v26, v16
	v_add_co_ci_u32_e64 v19, s0, v27, v17, s0
	v_lshlrev_b64 v[16:17], 2, v[20:21]
	v_mad_u64_u32 v[20:21], null, s21, v28, v[10:11]
	v_lshlrev_b64 v[14:15], 2, v[14:15]
	v_mov_b32_e32 v23, v9
	v_add_co_u32 v9, s0, v26, v16
	v_add_co_ci_u32_e64 v10, s0, v27, v17, s0
	v_mov_b32_e32 v25, v20
	v_lshlrev_b64 v[16:17], 2, v[22:23]
	v_add_co_u32 v21, s0, v26, v14
	v_add_co_ci_u32_e64 v22, s0, v27, v15, s0
	v_lshlrev_b64 v[14:15], 2, v[24:25]
	v_add_co_u32 v23, s0, v26, v16
	v_add_co_ci_u32_e64 v24, s0, v27, v17, s0
	v_add_co_u32 v25, s0, v26, v14
	v_add_co_ci_u32_e64 v26, s0, v27, v15, s0
	s_clause 0x7
	global_load_dword v16, v[7:8], off
	global_load_dword v14, v[5:6], off
	;; [unrolled: 1-line block ×8, first 2 shown]
	s_waitcnt vmcnt(7)
	v_lshrrev_b32_e32 v9, 16, v16
	s_waitcnt vmcnt(6)
	v_lshrrev_b32_e32 v15, 16, v14
	;; [unrolled: 2-line block ×8, first 2 shown]
.LBB0_12:
	s_or_b32 exec_lo, exec_lo, s14
	v_mov_b32_e32 v7, v0
.LBB0_13:
	s_or_b32 exec_lo, exec_lo, s1
	v_sub_f16_e32 v19, v14, v19
	v_sub_f16_e32 v18, v8, v18
	;; [unrolled: 1-line block ×7, first 2 shown]
	v_fma_f16 v27, v14, 2.0, -v19
	v_fma_f16 v8, v8, 2.0, -v18
	;; [unrolled: 1-line block ×4, first 2 shown]
	v_sub_f16_e32 v28, v5, v21
	v_fma_f16 v22, v15, 2.0, -v25
	v_sub_f16_e32 v6, v19, v23
	v_sub_f16_e32 v14, v27, v8
	v_fma_f16 v8, v13, 2.0, -v23
	v_sub_f16_e32 v29, v16, v17
	v_fma_f16 v5, v5, 2.0, -v28
	v_add_f16_e32 v26, v25, v18
	v_fma_f16 v24, v19, 2.0, -v6
	v_sub_f16_e32 v13, v22, v8
	v_and_b32_e32 v8, 1, v11
	v_fma_f16 v17, v16, 2.0, -v29
	v_fma_f16 v16, v27, 2.0, -v14
	;; [unrolled: 1-line block ×3, first 2 shown]
	v_fmamk_f16 v15, v24, 0xb9a8, v5
	v_fmamk_f16 v27, v6, 0x39a8, v28
	v_cmp_eq_u32_e64 s0, 1, v8
	v_sub_f16_e32 v11, v17, v16
	v_sub_f16_e32 v16, v29, v13
	v_fmac_f16_e32 v15, 0xb9a8, v25
	v_fmac_f16_e32 v27, 0xb9a8, v26
	v_cndmask_b32_e64 v30, 0, 0x150, s0
	v_fma_f16 v8, v17, 2.0, -v11
	v_fma_f16 v18, v29, 2.0, -v16
	;; [unrolled: 1-line block ×4, first 2 shown]
	v_cmp_gt_u32_e64 s1, 42, v0
	v_lshlrev_b32_e32 v23, 4, v0
	v_lshlrev_b32_e32 v5, 1, v30
	s_and_saveexec_b32 s0, s1
	s_cbranch_execz .LBB0_15
; %bb.14:
	v_add3_u32 v28, 0, v23, v5
	v_perm_b32 v29, v19, v18, 0x5040100
	v_perm_b32 v30, v17, v8, 0x5040100
	;; [unrolled: 1-line block ×4, first 2 shown]
	ds_write2_b32 v28, v30, v29 offset1:1
	ds_write2_b32 v28, v31, v27 offset0:2 offset1:3
.LBB0_15:
	s_or_b32 exec_lo, exec_lo, s0
	v_mul_f16_e32 v24, 0x39a8, v24
	v_mul_f16_e32 v27, 0x39a8, v25
	v_mul_f16_e32 v25, 0x39a8, v6
	v_mul_f16_e32 v26, 0x39a8, v26
	v_cmp_gt_u32_e64 s0, 48, v0
	v_lshlrev_b32_e32 v6, 1, v0
	s_waitcnt lgkmcnt(0)
	s_barrier
	buffer_gl0_inv
	s_and_saveexec_b32 s6, s0
	s_cbranch_execz .LBB0_17
; %bb.16:
	v_add3_u32 v8, 0, v5, v6
	v_add3_u32 v16, 0, v6, v5
	ds_read_u16 v8, v8
	ds_read_u16 v17, v16 offset:96
	ds_read_u16 v18, v16 offset:192
	;; [unrolled: 1-line block ×6, first 2 shown]
.LBB0_17:
	s_or_b32 exec_lo, exec_lo, s6
	v_sub_f16_e32 v12, v9, v12
	v_fma_f16 v10, v10, 2.0, -v21
	s_waitcnt lgkmcnt(0)
	s_barrier
	buffer_gl0_inv
	v_fma_f16 v9, v9, 2.0, -v12
	v_add_f16_e32 v20, v12, v20
	v_sub_f16_e32 v21, v9, v10
	v_fma_f16 v28, v12, 2.0, -v20
	v_fma_f16 v10, v22, 2.0, -v13
	v_add_f16_e32 v26, v20, v26
	v_fma_f16 v13, v9, 2.0, -v21
	v_sub_f16_e32 v22, v28, v27
	v_add_f16_e32 v9, v21, v14
	v_add_f16_e32 v14, v25, v26
	v_sub_f16_e32 v12, v13, v10
	v_add_f16_e32 v10, v24, v22
	v_fma_f16 v26, v21, 2.0, -v9
	v_fma_f16 v13, v13, 2.0, -v12
	;; [unrolled: 1-line block ×4, first 2 shown]
	s_and_saveexec_b32 s6, s1
	s_cbranch_execz .LBB0_19
; %bb.18:
	v_add3_u32 v20, 0, v23, v5
	v_perm_b32 v21, v28, v26, 0x5040100
	v_perm_b32 v22, v29, v13, 0x5040100
	;; [unrolled: 1-line block ×4, first 2 shown]
	ds_write2_b32 v20, v22, v21 offset1:1
	ds_write2_b32 v20, v23, v14 offset0:2 offset1:3
.LBB0_19:
	s_or_b32 exec_lo, exec_lo, s6
	s_waitcnt lgkmcnt(0)
	s_barrier
	buffer_gl0_inv
	s_and_saveexec_b32 s1, s0
	s_cbranch_execz .LBB0_21
; %bb.20:
	v_add3_u32 v9, 0, v5, v6
	v_add3_u32 v14, 0, v6, v5
	ds_read_u16 v13, v9
	ds_read_u16 v29, v14 offset:96
	ds_read_u16 v26, v14 offset:192
	;; [unrolled: 1-line block ×6, first 2 shown]
.LBB0_21:
	s_or_b32 exec_lo, exec_lo, s1
	v_and_b32_e32 v14, 7, v0
	v_mul_u32_u24_e32 v20, 6, v14
	v_lshlrev_b32_e32 v20, 2, v20
	s_clause 0x1
	global_load_dwordx4 v[30:33], v20, s[12:13]
	global_load_dwordx2 v[34:35], v20, s[12:13] offset:16
	s_waitcnt vmcnt(0) lgkmcnt(0)
	s_barrier
	buffer_gl0_inv
	v_mul_f16_sdwa v25, v29, v30 dst_sel:DWORD dst_unused:UNUSED_PAD src0_sel:DWORD src1_sel:WORD_1
	v_mul_f16_sdwa v21, v17, v30 dst_sel:DWORD dst_unused:UNUSED_PAD src0_sel:DWORD src1_sel:WORD_1
	;; [unrolled: 1-line block ×12, first 2 shown]
	v_fma_f16 v25, v17, v30, -v25
	v_fmac_f16_e32 v21, v29, v30
	v_fma_f16 v18, v18, v31, -v36
	v_fmac_f16_e32 v22, v26, v31
	;; [unrolled: 2-line block ×6, first 2 shown]
	v_lshrrev_b32_e32 v15, 3, v0
	s_and_saveexec_b32 s1, s0
	s_cbranch_execz .LBB0_23
; %bb.22:
	v_add_f16_e32 v9, v25, v29
	v_add_f16_e32 v10, v18, v28
	;; [unrolled: 1-line block ×3, first 2 shown]
	v_sub_f16_e32 v12, v21, v27
	v_sub_f16_e32 v16, v23, v20
	;; [unrolled: 1-line block ×3, first 2 shown]
	v_add_f16_e32 v17, v10, v9
	v_sub_f16_e32 v31, v9, v11
	v_sub_f16_e32 v32, v11, v10
	;; [unrolled: 1-line block ×3, first 2 shown]
	v_mul_u32_u24_e32 v35, 56, v15
	v_add_f16_e32 v11, v11, v17
	v_sub_f16_e32 v17, v16, v30
	v_add_f16_e32 v16, v16, v30
	v_sub_f16_e32 v30, v30, v12
	v_sub_f16_e32 v9, v10, v9
	v_mul_f16_e32 v10, 0x3a52, v31
	v_mul_f16_e32 v17, 0xb846, v17
	v_add_f16_e32 v12, v16, v12
	v_mul_f16_e32 v16, 0x3b00, v30
	v_add_f16_e32 v8, v8, v11
	v_mul_f16_e32 v31, 0x2b26, v32
	v_fmamk_f16 v34, v33, 0x3574, v17
	v_fmamk_f16 v32, v32, 0x2b26, v10
	v_fma_f16 v16, v33, 0xb574, -v16
	v_or_b32_e32 v33, v35, v14
	v_fmamk_f16 v11, v11, 0xbcab, v8
	v_fma_f16 v10, v9, 0xb9e0, -v10
	v_fma_f16 v17, v30, 0x3b00, -v17
	;; [unrolled: 1-line block ×3, first 2 shown]
	v_lshlrev_b32_e32 v30, 1, v33
	v_add_f16_e32 v32, v32, v11
	v_fmac_f16_e32 v34, 0x370e, v12
	v_add_f16_e32 v10, v10, v11
	v_fmac_f16_e32 v16, 0x370e, v12
	v_fmac_f16_e32 v17, 0x370e, v12
	v_add_f16_e32 v9, v9, v11
	v_add3_u32 v12, 0, v30, v5
	v_add_f16_e32 v30, v34, v32
	v_sub_f16_e32 v11, v10, v16
	v_add_f16_e32 v10, v16, v10
	v_sub_f16_e32 v16, v9, v17
	;; [unrolled: 2-line block ×3, first 2 shown]
	ds_write_b16 v12, v8
	ds_write_b16 v12, v30 offset:16
	ds_write_b16 v12, v10 offset:32
	;; [unrolled: 1-line block ×6, first 2 shown]
.LBB0_23:
	s_or_b32 exec_lo, exec_lo, s1
	v_add3_u32 v17, 0, v5, v6
	v_add3_u32 v16, 0, v6, v5
	s_waitcnt lgkmcnt(0)
	s_barrier
	buffer_gl0_inv
	ds_read_u16 v6, v17
	ds_read_u16 v8, v16 offset:112
	ds_read_u16 v11, v16 offset:224
	;; [unrolled: 1-line block ×5, first 2 shown]
	s_waitcnt lgkmcnt(0)
	s_barrier
	buffer_gl0_inv
	s_and_saveexec_b32 s1, s0
	s_cbranch_execz .LBB0_25
; %bb.24:
	v_add_f16_e32 v21, v21, v27
	v_add_f16_e32 v22, v22, v24
	v_add_f16_e32 v20, v20, v23
	v_sub_f16_e32 v18, v18, v28
	v_sub_f16_e32 v19, v26, v19
	v_sub_f16_e32 v24, v25, v29
	v_add_f16_e32 v23, v22, v21
	v_sub_f16_e32 v25, v22, v21
	v_sub_f16_e32 v21, v21, v20
	;; [unrolled: 1-line block ×3, first 2 shown]
	v_add_f16_e32 v26, v19, v18
	v_add_f16_e32 v20, v20, v23
	v_sub_f16_e32 v23, v19, v18
	v_sub_f16_e32 v18, v18, v24
	v_mul_u32_u24_e32 v15, 56, v15
	v_sub_f16_e32 v19, v24, v19
	v_add_f16_e32 v24, v26, v24
	v_add_f16_e32 v13, v13, v20
	v_mul_f16_e32 v21, 0x3a52, v21
	v_mul_f16_e32 v26, 0x2b26, v22
	;; [unrolled: 1-line block ×4, first 2 shown]
	v_or_b32_e32 v14, v15, v14
	v_fmamk_f16 v20, v20, 0xbcab, v13
	v_fmamk_f16 v22, v22, 0x2b26, v21
	v_fma_f16 v26, v25, 0x39e0, -v26
	v_fma_f16 v21, v25, 0xb9e0, -v21
	v_fmamk_f16 v25, v19, 0x3574, v23
	v_fma_f16 v19, v19, 0xb574, -v27
	v_fma_f16 v18, v18, 0x3b00, -v23
	v_lshlrev_b32_e32 v14, 1, v14
	v_add_f16_e32 v22, v22, v20
	v_fmac_f16_e32 v25, 0x370e, v24
	v_add_f16_e32 v15, v26, v20
	v_add_f16_e32 v20, v21, v20
	v_fmac_f16_e32 v19, 0x370e, v24
	v_fmac_f16_e32 v18, 0x370e, v24
	v_add3_u32 v5, 0, v14, v5
	v_sub_f16_e32 v21, v22, v25
	v_sub_f16_e32 v23, v20, v19
	v_add_f16_e32 v14, v18, v15
	v_sub_f16_e32 v15, v15, v18
	v_add_f16_e32 v18, v19, v20
	v_add_f16_e32 v19, v25, v22
	ds_write_b16 v5, v13
	ds_write_b16 v5, v21 offset:16
	ds_write_b16 v5, v23 offset:32
	ds_write_b16 v5, v14 offset:48
	ds_write_b16 v5, v15 offset:64
	ds_write_b16 v5, v18 offset:80
	ds_write_b16 v5, v19 offset:96
.LBB0_25:
	s_or_b32 exec_lo, exec_lo, s1
	s_waitcnt lgkmcnt(0)
	s_barrier
	buffer_gl0_inv
	s_and_saveexec_b32 s0, vcc_lo
	s_cbranch_execz .LBB0_27
; %bb.26:
	v_mul_u32_u24_e32 v0, 5, v0
	v_mul_lo_u32 v5, s5, v3
	v_mul_lo_u32 v28, s4, v4
	v_mad_u64_u32 v[3:4], null, s4, v3, 0
	v_lshlrev_b32_e32 v0, 2, v0
	v_mad_u64_u32 v[13:14], null, s2, v7, 0
	v_add_nc_u32_e32 v32, 56, v7
	v_add_nc_u32_e32 v33, 0x70, v7
	s_clause 0x1
	global_load_dwordx4 v[18:21], v0, s[12:13] offset:192
	global_load_dword v36, v0, s[12:13] offset:208
	v_add_nc_u32_e32 v34, 0xa8, v7
	ds_read_u16 v17, v17
	ds_read_u16 v37, v16 offset:560
	ds_read_u16 v38, v16 offset:448
	;; [unrolled: 1-line block ×5, first 2 shown]
	v_add_nc_u32_e32 v35, 0xe0, v7
	v_mad_u64_u32 v[15:16], null, s2, v32, 0
	v_mad_u64_u32 v[22:23], null, s2, v33, 0
	v_lshlrev_b64 v[0:1], 2, v[1:2]
	v_add_nc_u32_e32 v42, 0x118, v7
	v_mov_b32_e32 v2, v14
	v_add3_u32 v4, v4, v28, v5
	v_mad_u64_u32 v[24:25], null, s2, v34, 0
	v_mad_u64_u32 v[26:27], null, s2, v35, 0
	;; [unrolled: 1-line block ×4, first 2 shown]
	v_lshlrev_b64 v[2:3], 2, v[3:4]
	v_mov_b32_e32 v4, v16
	v_mov_b32_e32 v5, v23
	;; [unrolled: 1-line block ×5, first 2 shown]
	v_add_co_u32 v2, vcc_lo, s10, v2
	v_mad_u64_u32 v[31:32], null, s3, v32, v[4:5]
	v_mad_u64_u32 v[4:5], null, s3, v33, v[5:6]
	;; [unrolled: 1-line block ×4, first 2 shown]
	v_add_co_ci_u32_e32 v3, vcc_lo, s11, v3, vcc_lo
	v_mov_b32_e32 v14, v30
	s_waitcnt lgkmcnt(5)
	v_mad_u64_u32 v[34:35], null, s3, v42, v[16:17]
	v_add_co_u32 v7, vcc_lo, v2, v0
	v_mov_b32_e32 v16, v31
	v_add_co_ci_u32_e32 v30, vcc_lo, v3, v1, vcc_lo
	v_lshlrev_b64 v[0:1], 2, v[13:14]
	v_mov_b32_e32 v23, v4
	v_lshlrev_b64 v[2:3], 2, v[15:16]
	v_mov_b32_e32 v25, v32
	v_mov_b32_e32 v27, v33
	;; [unrolled: 1-line block ×3, first 2 shown]
	v_lshlrev_b64 v[4:5], 2, v[22:23]
	v_add_co_u32 v0, vcc_lo, v7, v0
	v_add_co_ci_u32_e32 v1, vcc_lo, v30, v1, vcc_lo
	v_lshlrev_b64 v[13:14], 2, v[24:25]
	v_add_co_u32 v2, vcc_lo, v7, v2
	v_add_co_ci_u32_e32 v3, vcc_lo, v30, v3, vcc_lo
	;; [unrolled: 3-line block ×4, first 2 shown]
	v_add_co_u32 v15, vcc_lo, v7, v15
	v_add_co_ci_u32_e32 v16, vcc_lo, v30, v16, vcc_lo
	v_add_co_u32 v22, vcc_lo, v7, v22
	v_add_co_ci_u32_e32 v23, vcc_lo, v30, v23, vcc_lo
	s_waitcnt vmcnt(1)
	v_mul_f16_sdwa v25, v11, v19 dst_sel:DWORD dst_unused:UNUSED_PAD src0_sel:DWORD src1_sel:WORD_1
	v_mul_f16_sdwa v26, v12, v21 dst_sel:DWORD dst_unused:UNUSED_PAD src0_sel:DWORD src1_sel:WORD_1
	s_waitcnt lgkmcnt(2)
	v_mul_f16_sdwa v28, v39, v20 dst_sel:DWORD dst_unused:UNUSED_PAD src0_sel:DWORD src1_sel:WORD_1
	s_waitcnt vmcnt(0)
	v_mul_f16_sdwa v29, v37, v36 dst_sel:DWORD dst_unused:UNUSED_PAD src0_sel:DWORD src1_sel:WORD_1
	v_mul_f16_sdwa v30, v9, v20 dst_sel:DWORD dst_unused:UNUSED_PAD src0_sel:DWORD src1_sel:WORD_1
	;; [unrolled: 1-line block ×3, first 2 shown]
	s_waitcnt lgkmcnt(1)
	v_mul_f16_sdwa v7, v40, v19 dst_sel:DWORD dst_unused:UNUSED_PAD src0_sel:DWORD src1_sel:WORD_1
	v_mul_f16_sdwa v24, v38, v21 dst_sel:DWORD dst_unused:UNUSED_PAD src0_sel:DWORD src1_sel:WORD_1
	s_waitcnt lgkmcnt(0)
	v_mul_f16_sdwa v27, v41, v18 dst_sel:DWORD dst_unused:UNUSED_PAD src0_sel:DWORD src1_sel:WORD_1
	v_mul_f16_sdwa v32, v8, v18 dst_sel:DWORD dst_unused:UNUSED_PAD src0_sel:DWORD src1_sel:WORD_1
	v_fmac_f16_e32 v25, v19, v40
	v_fmac_f16_e32 v26, v21, v38
	v_fma_f16 v9, v9, v20, -v28
	v_fma_f16 v10, v10, v36, -v29
	v_fmac_f16_e32 v30, v20, v39
	v_fmac_f16_e32 v31, v36, v37
	v_fma_f16 v7, v11, v19, -v7
	v_fma_f16 v11, v12, v21, -v24
	;; [unrolled: 1-line block ×3, first 2 shown]
	v_fmac_f16_e32 v32, v18, v41
	v_add_f16_e32 v18, v25, v26
	v_add_f16_e32 v19, v9, v10
	;; [unrolled: 1-line block ×3, first 2 shown]
	v_sub_f16_e32 v12, v7, v11
	v_sub_f16_e32 v20, v30, v31
	;; [unrolled: 1-line block ×3, first 2 shown]
	v_add_f16_e32 v27, v25, v17
	v_add_f16_e32 v28, v32, v30
	;; [unrolled: 1-line block ×5, first 2 shown]
	v_fma_f16 v17, -0.5, v18, v17
	v_fma_f16 v8, -0.5, v19, v8
	;; [unrolled: 1-line block ×3, first 2 shown]
	v_sub_f16_e32 v25, v25, v26
	v_add_f16_e32 v19, v26, v27
	v_add_f16_e32 v24, v28, v31
	;; [unrolled: 1-line block ×4, first 2 shown]
	v_fmamk_f16 v11, v20, 0xbaee, v8
	v_fmamk_f16 v26, v21, 0x3aee, v18
	v_fmac_f16_e32 v18, 0xbaee, v21
	v_fmac_f16_e32 v8, 0x3aee, v20
	v_fma_f16 v6, -0.5, v29, v6
	v_fmamk_f16 v10, v12, 0x3aee, v17
	v_fmac_f16_e32 v17, 0xbaee, v12
	v_sub_f16_e32 v12, v19, v24
	v_sub_f16_e32 v21, v7, v9
	v_add_f16_e32 v19, v19, v24
	v_add_f16_e32 v7, v7, v9
	v_mul_f16_e32 v9, -0.5, v26
	v_mul_f16_e32 v24, 0xbaee, v8
	v_mul_f16_e32 v27, 0x3aee, v18
	v_fmamk_f16 v20, v25, 0xbaee, v6
	v_fmac_f16_e32 v6, 0x3aee, v25
	v_mul_f16_e32 v25, -0.5, v11
	v_fmac_f16_e32 v9, 0xbaee, v11
	v_fmac_f16_e32 v24, 0.5, v18
	v_fmac_f16_e32 v27, 0.5, v8
	v_pack_b32_f16 v11, v21, v12
	v_fmac_f16_e32 v25, 0x3aee, v26
	v_sub_f16_e32 v8, v10, v9
	v_add_f16_e32 v9, v10, v9
	v_add_f16_e32 v10, v17, v24
	;; [unrolled: 1-line block ×4, first 2 shown]
	v_pack_b32_f16 v7, v7, v19
	v_sub_f16_e32 v17, v17, v24
	v_sub_f16_e32 v6, v6, v27
	;; [unrolled: 1-line block ×3, first 2 shown]
	v_pack_b32_f16 v10, v12, v10
	v_pack_b32_f16 v9, v18, v9
	global_store_dword v[0:1], v7, off
	v_pack_b32_f16 v0, v6, v17
	v_pack_b32_f16 v1, v19, v8
	global_store_dword v[2:3], v10, off
	global_store_dword v[4:5], v9, off
	;; [unrolled: 1-line block ×5, first 2 shown]
.LBB0_27:
	s_endpgm
	.section	.rodata,"a",@progbits
	.p2align	6, 0x0
	.amdhsa_kernel fft_rtc_fwd_len336_factors_8_7_6_wgs_112_tpt_56_halfLds_half_op_CI_CI_sbrr_dirReg
		.amdhsa_group_segment_fixed_size 0
		.amdhsa_private_segment_fixed_size 0
		.amdhsa_kernarg_size 104
		.amdhsa_user_sgpr_count 6
		.amdhsa_user_sgpr_private_segment_buffer 1
		.amdhsa_user_sgpr_dispatch_ptr 0
		.amdhsa_user_sgpr_queue_ptr 0
		.amdhsa_user_sgpr_kernarg_segment_ptr 1
		.amdhsa_user_sgpr_dispatch_id 0
		.amdhsa_user_sgpr_flat_scratch_init 0
		.amdhsa_user_sgpr_private_segment_size 0
		.amdhsa_wavefront_size32 1
		.amdhsa_uses_dynamic_stack 0
		.amdhsa_system_sgpr_private_segment_wavefront_offset 0
		.amdhsa_system_sgpr_workgroup_id_x 1
		.amdhsa_system_sgpr_workgroup_id_y 0
		.amdhsa_system_sgpr_workgroup_id_z 0
		.amdhsa_system_sgpr_workgroup_info 0
		.amdhsa_system_vgpr_workitem_id 0
		.amdhsa_next_free_vgpr 43
		.amdhsa_next_free_sgpr 31
		.amdhsa_reserve_vcc 1
		.amdhsa_reserve_flat_scratch 0
		.amdhsa_float_round_mode_32 0
		.amdhsa_float_round_mode_16_64 0
		.amdhsa_float_denorm_mode_32 3
		.amdhsa_float_denorm_mode_16_64 3
		.amdhsa_dx10_clamp 1
		.amdhsa_ieee_mode 1
		.amdhsa_fp16_overflow 0
		.amdhsa_workgroup_processor_mode 1
		.amdhsa_memory_ordered 1
		.amdhsa_forward_progress 0
		.amdhsa_shared_vgpr_count 0
		.amdhsa_exception_fp_ieee_invalid_op 0
		.amdhsa_exception_fp_denorm_src 0
		.amdhsa_exception_fp_ieee_div_zero 0
		.amdhsa_exception_fp_ieee_overflow 0
		.amdhsa_exception_fp_ieee_underflow 0
		.amdhsa_exception_fp_ieee_inexact 0
		.amdhsa_exception_int_div_zero 0
	.end_amdhsa_kernel
	.text
.Lfunc_end0:
	.size	fft_rtc_fwd_len336_factors_8_7_6_wgs_112_tpt_56_halfLds_half_op_CI_CI_sbrr_dirReg, .Lfunc_end0-fft_rtc_fwd_len336_factors_8_7_6_wgs_112_tpt_56_halfLds_half_op_CI_CI_sbrr_dirReg
                                        ; -- End function
	.section	.AMDGPU.csdata,"",@progbits
; Kernel info:
; codeLenInByte = 4684
; NumSgprs: 33
; NumVgprs: 43
; ScratchSize: 0
; MemoryBound: 0
; FloatMode: 240
; IeeeMode: 1
; LDSByteSize: 0 bytes/workgroup (compile time only)
; SGPRBlocks: 4
; VGPRBlocks: 5
; NumSGPRsForWavesPerEU: 33
; NumVGPRsForWavesPerEU: 43
; Occupancy: 16
; WaveLimiterHint : 1
; COMPUTE_PGM_RSRC2:SCRATCH_EN: 0
; COMPUTE_PGM_RSRC2:USER_SGPR: 6
; COMPUTE_PGM_RSRC2:TRAP_HANDLER: 0
; COMPUTE_PGM_RSRC2:TGID_X_EN: 1
; COMPUTE_PGM_RSRC2:TGID_Y_EN: 0
; COMPUTE_PGM_RSRC2:TGID_Z_EN: 0
; COMPUTE_PGM_RSRC2:TIDIG_COMP_CNT: 0
	.text
	.p2alignl 6, 3214868480
	.fill 48, 4, 3214868480
	.type	__hip_cuid_d0f0be011593021f,@object ; @__hip_cuid_d0f0be011593021f
	.section	.bss,"aw",@nobits
	.globl	__hip_cuid_d0f0be011593021f
__hip_cuid_d0f0be011593021f:
	.byte	0                               ; 0x0
	.size	__hip_cuid_d0f0be011593021f, 1

	.ident	"AMD clang version 19.0.0git (https://github.com/RadeonOpenCompute/llvm-project roc-6.4.0 25133 c7fe45cf4b819c5991fe208aaa96edf142730f1d)"
	.section	".note.GNU-stack","",@progbits
	.addrsig
	.addrsig_sym __hip_cuid_d0f0be011593021f
	.amdgpu_metadata
---
amdhsa.kernels:
  - .args:
      - .actual_access:  read_only
        .address_space:  global
        .offset:         0
        .size:           8
        .value_kind:     global_buffer
      - .offset:         8
        .size:           8
        .value_kind:     by_value
      - .actual_access:  read_only
        .address_space:  global
        .offset:         16
        .size:           8
        .value_kind:     global_buffer
      - .actual_access:  read_only
        .address_space:  global
        .offset:         24
        .size:           8
        .value_kind:     global_buffer
      - .actual_access:  read_only
        .address_space:  global
        .offset:         32
        .size:           8
        .value_kind:     global_buffer
      - .offset:         40
        .size:           8
        .value_kind:     by_value
      - .actual_access:  read_only
        .address_space:  global
        .offset:         48
        .size:           8
        .value_kind:     global_buffer
      - .actual_access:  read_only
        .address_space:  global
        .offset:         56
        .size:           8
        .value_kind:     global_buffer
      - .offset:         64
        .size:           4
        .value_kind:     by_value
      - .actual_access:  read_only
        .address_space:  global
        .offset:         72
        .size:           8
        .value_kind:     global_buffer
      - .actual_access:  read_only
        .address_space:  global
        .offset:         80
        .size:           8
        .value_kind:     global_buffer
      - .actual_access:  read_only
        .address_space:  global
        .offset:         88
        .size:           8
        .value_kind:     global_buffer
      - .actual_access:  write_only
        .address_space:  global
        .offset:         96
        .size:           8
        .value_kind:     global_buffer
    .group_segment_fixed_size: 0
    .kernarg_segment_align: 8
    .kernarg_segment_size: 104
    .language:       OpenCL C
    .language_version:
      - 2
      - 0
    .max_flat_workgroup_size: 112
    .name:           fft_rtc_fwd_len336_factors_8_7_6_wgs_112_tpt_56_halfLds_half_op_CI_CI_sbrr_dirReg
    .private_segment_fixed_size: 0
    .sgpr_count:     33
    .sgpr_spill_count: 0
    .symbol:         fft_rtc_fwd_len336_factors_8_7_6_wgs_112_tpt_56_halfLds_half_op_CI_CI_sbrr_dirReg.kd
    .uniform_work_group_size: 1
    .uses_dynamic_stack: false
    .vgpr_count:     43
    .vgpr_spill_count: 0
    .wavefront_size: 32
    .workgroup_processor_mode: 1
amdhsa.target:   amdgcn-amd-amdhsa--gfx1030
amdhsa.version:
  - 1
  - 2
...

	.end_amdgpu_metadata
